;; amdgpu-corpus repo=ROCm/rocm-examples kind=compiled arch=gfx950 opt=O3
	.amdgcn_target "amdgcn-amd-amdhsa--gfx950"
	.amdhsa_code_object_version 6
	.text
	.protected	_Z14gemm_rocwmma_djjjPKDF16_S0_S0_PDF16_jjjjff ; -- Begin function _Z14gemm_rocwmma_djjjPKDF16_S0_S0_PDF16_jjjjff
	.globl	_Z14gemm_rocwmma_djjjPKDF16_S0_S0_PDF16_jjjjff
	.p2align	8
	.type	_Z14gemm_rocwmma_djjjPKDF16_S0_S0_PDF16_jjjjff,@function
_Z14gemm_rocwmma_djjjPKDF16_S0_S0_PDF16_jjjjff: ; @_Z14gemm_rocwmma_djjjPKDF16_S0_S0_PDF16_jjjjff
; %bb.0:
	s_load_dwordx4 s[16:19], s[0:1], 0x0
	v_bfe_u32 v4, v0, 10, 10
	v_and_b32_e32 v9, 0xc0, v0
	v_lshlrev_b32_e32 v10, 6, v4
	s_lshl_b32 s20, s2, 7
	s_lshl_b32 s22, s3, 7
	v_add_u32_e32 v1, s20, v9
	v_add_u32_e32 v2, s22, v10
	;; [unrolled: 1-line block ×4, first 2 shown]
	s_waitcnt lgkmcnt(0)
	v_cmp_ge_u32_e32 vcc, s16, v3
	v_cmp_ge_u32_e64 s[2:3], s17, v5
	s_and_b64 s[2:3], vcc, s[2:3]
	s_and_saveexec_b64 s[4:5], s[2:3]
	s_cbranch_execz .LBB0_5
; %bb.1:
	v_and_b32_e32 v3, 0x3ff, v0
	s_load_dwordx8 s[4:11], s[0:1], 0x10
	s_load_dwordx4 s[12:15], s[0:1], 0x30
	s_load_dwordx2 s[2:3], s[0:1], 0x40
	v_lshrrev_b32_e32 v0, 5, v3
	v_and_b32_e32 v0, 30, v0
	s_mov_b32 s21, 0
	v_add_u32_e32 v8, v0, v4
	v_lshlrev_b32_e32 v0, 3, v3
	v_bfe_u32 v4, v3, 4, 2
	s_lshl_b64 s[0:1], s[20:21], 1
	v_and_b32_e32 v0, 0x78, v0
	v_lshl_or_b32 v11, v8, 2, v4
	s_waitcnt lgkmcnt(0)
	s_add_u32 s0, s4, s0
	v_mad_u64_u32 v[4:5], s[16:17], s12, v11, v[0:1]
	s_addc_u32 s1, s5, s1
	v_mov_b32_e32 v5, 0
	s_mov_b32 s23, s21
	v_lshl_add_u64 v[6:7], v[4:5], 1, s[0:1]
	s_lshl_b64 s[0:1], s[22:23], 1
	global_load_dwordx4 v[12:15], v[6:7], off
	s_add_u32 s0, s6, s0
	v_mad_u64_u32 v[6:7], s[16:17], s13, v11, v[0:1]
	s_addc_u32 s1, s7, s1
	v_mov_b32_e32 v7, v5
	v_lshl_add_u64 v[16:17], v[6:7], 1, s[0:1]
	global_load_dwordx4 v[16:19], v[16:17], off
	v_lshlrev_b32_e32 v11, 4, v3
	v_lshlrev_b32_e32 v8, 10, v8
	v_and_b32_e32 v11, 0x300, v11
	v_or3_b32 v8, v8, v11, v0
	v_lshl_add_u32 v0, v8, 1, 0
	v_lshlrev_b32_e32 v11, 6, v3
	s_movk_i32 s0, 0xc00
	v_accvgpr_write_b32 a16, 0
	v_accvgpr_write_b32 a17, 0
	;; [unrolled: 1-line block ×56, first 2 shown]
	s_waitcnt vmcnt(1)
	ds_write_b128 v0, v[12:15]
	s_waitcnt vmcnt(0)
	ds_write_b128 v0, v[16:19] offset:256
	v_lshlrev_b32_e32 v0, 2, v3
	v_and_b32_e32 v0, 60, v0
	v_and_or_b32 v11, v11, s0, v0
	v_accvgpr_write_b32 a56, 0
	v_accvgpr_write_b32 a57, 0
	;; [unrolled: 1-line block ×8, first 2 shown]
	s_cmp_lt_u32 s18, 17
	v_lshlrev_b32_e32 v40, 1, v9
	v_lshlrev_b32_e32 v38, 1, v11
	;; [unrolled: 1-line block ×3, first 2 shown]
	s_waitcnt lgkmcnt(0)
	s_barrier
	s_cbranch_scc1 .LBB0_4
; %bb.2:
	s_lshl_b32 s12, s12, 4
	s_lshl_b32 s13, s13, 4
	s_mov_b32 s1, 0
	v_lshl_add_u64 v[4:5], v[4:5], 1, s[4:5]
	v_lshl_add_u64 v[6:7], v[6:7], 1, s[6:7]
	s_add_i32 s0, s20, s12
	s_add_i32 s6, 0, 0x2000
	;; [unrolled: 1-line block ×3, first 2 shown]
	v_accvgpr_write_b32 a63, 0
	v_accvgpr_write_b32 a62, 0
	;; [unrolled: 1-line block ×64, first 2 shown]
	s_mov_b32 s7, 16
	s_mov_b32 s16, 0x7060302
	;; [unrolled: 1-line block ×4, first 2 shown]
.LBB0_3:                                ; =>This Inner Loop Header: Depth=1
	s_mov_b32 s21, s6
	s_mov_b32 s6, s5
	v_lshl_add_u64 v[10:11], s[0:1], 1, v[4:5]
	s_mov_b32 s5, s1
	global_load_dwordx4 v[10:13], v[10:11], off
	v_lshl_add_u64 v[14:15], s[4:5], 1, v[6:7]
	global_load_dwordx4 v[14:17], v[14:15], off
	v_add3_u32 v9, s6, v40, v38
	v_add3_u32 v30, s6, v39, v38
	ds_read2st64_b64 v[18:21], v9 offset0:2 offset1:3
	ds_read2st64_b64 v[22:25], v9 offset1:1
	ds_read2_b64 v[26:29], v30 offset0:32 offset1:96
	ds_read2_b64 v[30:33], v30 offset0:160 offset1:224
	v_accvgpr_read_b32 v58, a12
	s_waitcnt lgkmcnt(3)
	v_perm_b32 v35, v20, v18, s17
	s_waitcnt lgkmcnt(2)
	v_perm_b32 v34, v24, v22, s17
	v_perm_b32 v47, v20, v18, s16
	;; [unrolled: 1-line block ×3, first 2 shown]
	s_waitcnt lgkmcnt(0)
	v_perm_b32 v37, v32, v30, s17
	v_perm_b32 v36, v28, v26, s17
	;; [unrolled: 1-line block ×8, first 2 shown]
	v_accvgpr_read_b32 v54, a8
	v_accvgpr_read_b32 v53, a7
	;; [unrolled: 1-line block ×7, first 2 shown]
	v_accvgpr_mov_b32 a14, a16
	v_accvgpr_read_b32 v59, a13
	v_accvgpr_write_b32 a10, v58
	v_accvgpr_read_b32 v55, a9
	v_accvgpr_write_b32 a6, v54
	v_accvgpr_read_b32 v50, a4
	v_perm_b32 v19, v21, v19, s16
	v_perm_b32 v18, v25, v23, s16
	v_accvgpr_read_b32 v49, a3
	v_accvgpr_read_b32 v48, a2
	v_accvgpr_mov_b32 a15, a17
	v_accvgpr_mov_b32 a16, a18
	;; [unrolled: 1-line block ×3, first 2 shown]
	v_perm_b32 v45, v33, v31, s17
	v_perm_b32 v31, v33, v31, s16
	v_accvgpr_write_b32 a11, v59
	v_accvgpr_write_b32 a12, v60
	;; [unrolled: 1-line block ×6, first 2 shown]
	v_accvgpr_read_b32 v51, a5
	v_accvgpr_write_b32 a2, v50
	v_mfma_f32_16x16x16_f16 a[16:19], v[34:35], v[36:37], a[14:17]
	v_accvgpr_write_b32 a3, v51
	v_accvgpr_write_b32 a4, v52
	;; [unrolled: 1-line block ×3, first 2 shown]
	v_mfma_f32_16x16x16_f16 a[32:35], v[46:47], v[36:37], a[32:35]
	s_add_i32 s7, s7, 16
	s_add_i32 s0, s0, s12
	s_add_i32 s4, s4, s13
	v_mfma_f32_16x16x16_f16 a[12:15], v[46:47], v[42:43], a[10:13]
	v_lshl_add_u32 v9, v8, 1, s21
	s_mov_b32 s5, s21
	s_cmp_ge_u32 s7, s18
	v_mfma_f32_16x16x16_f16 a[8:11], v[46:47], v[44:45], a[6:9]
	s_waitcnt vmcnt(1)
	ds_write_b128 v9, v[10:13]
	s_waitcnt vmcnt(0)
	ds_write_b128 v9, v[14:17] offset:256
	v_mfma_f32_16x16x16_f16 a[36:39], v[46:47], v[30:31], a[36:39]
	v_accvgpr_read_b32 v46, a0
	v_accvgpr_read_b32 v47, a1
	s_waitcnt lgkmcnt(0)
	v_mfma_f32_16x16x16_f16 a[4:7], v[26:27], v[42:43], a[2:5]
	v_accvgpr_write_b32 a0, v46
	v_accvgpr_write_b32 a1, v47
	s_barrier
	v_accvgpr_write_b32 a2, v48
	v_accvgpr_write_b32 a3, v49
	v_mfma_f32_16x16x16_f16 a[20:23], v[34:35], v[42:43], a[20:23]
	v_mfma_f32_16x16x16_f16 a[24:27], v[34:35], v[44:45], a[24:27]
	;; [unrolled: 1-line block ×10, first 2 shown]
	s_cbranch_scc0 .LBB0_3
.LBB0_4:
	v_mad_u64_u32 v[4:5], s[0:1], s14, v1, v[2:3]
	v_mov_b32_e32 v8, s8
	v_mov_b32_e32 v9, s9
	;; [unrolled: 1-line block ×3, first 2 shown]
	v_and_b32_e32 v3, 48, v3
	v_lshl_add_u64 v[36:37], v[4:5], 1, v[8:9]
	v_mad_u64_u32 v[8:9], s[0:1], s14, v3, v[0:1]
	v_add_u32_e32 v4, s14, v8
	v_lshl_add_u64 v[12:13], v[4:5], 1, v[36:37]
	v_add_u32_e32 v4, s14, v4
	v_mov_b32_e32 v9, v5
	v_lshl_add_u64 v[82:83], v[4:5], 1, v[36:37]
	v_add_u32_e32 v4, s14, v4
	v_lshl_add_u64 v[10:11], v[8:9], 1, v[36:37]
	v_lshl_add_u64 v[24:25], v[4:5], 1, v[36:37]
	v_add_u32_e32 v4, s14, v4
	global_load_dwordx2 v[14:15], v[10:11], off
	global_load_dwordx2 v[8:9], v[12:13], off
	v_lshl_add_u64 v[12:13], v[4:5], 1, v[36:37]
	v_add_u32_e32 v4, s14, v4
	v_lshl_add_u64 v[16:17], v[4:5], 1, v[36:37]
	v_add_u32_e32 v4, s14, v4
	;; [unrolled: 2-line block ×4, first 2 shown]
	global_load_dwordx2 v[18:19], v[12:13], off
	global_load_dwordx2 v[10:11], v[16:17], off
	v_lshl_add_u64 v[16:17], v[4:5], 1, v[36:37]
	v_add_u32_e32 v4, s14, v4
	v_lshl_add_u64 v[22:23], v[4:5], 1, v[36:37]
	v_add_u32_e32 v4, s14, v4
	;; [unrolled: 2-line block ×5, first 2 shown]
	global_load_dwordx2 v[20:21], v[16:17], off
	global_load_dwordx2 v[12:13], v[22:23], off
	v_lshl_add_u64 v[58:59], v[4:5], 1, v[36:37]
	global_load_dwordx2 v[22:23], v[34:35], off
	global_load_dwordx2 v[16:17], v[58:59], off
	v_add_u32_e32 v4, s14, v4
	v_lshl_add_u64 v[34:35], v[4:5], 1, v[36:37]
	v_add_u32_e32 v4, s14, v4
	v_lshl_add_u64 v[36:37], v[4:5], 1, v[36:37]
	v_add3_u32 v4, s21, v40, v38
	ds_read2st64_b64 v[64:67], v4 offset1:1
	ds_read2st64_b64 v[68:71], v4 offset0:2 offset1:3
	v_add3_u32 v4, s21, v39, v38
	ds_read2_b64 v[38:41], v4 offset0:32 offset1:96
	ds_read2_b64 v[72:75], v4 offset0:160 offset1:224
	s_mov_b32 s0, 0x5040100
	s_waitcnt lgkmcnt(3)
	v_perm_b32 v58, v66, v64, s0
	s_waitcnt lgkmcnt(2)
	v_perm_b32 v59, v70, v68, s0
	s_mov_b32 s1, 0x7060302
	v_accvgpr_read_b32 v54, a24
	v_perm_b32 v79, v70, v68, s1
	v_perm_b32 v78, v66, v64, s1
	s_waitcnt lgkmcnt(0)
	v_perm_b32 v89, v74, v72, s1
	v_perm_b32 v88, v40, v38, s1
	v_accvgpr_read_b32 v55, a25
	v_accvgpr_read_b32 v56, a26
	;; [unrolled: 1-line block ×7, first 2 shown]
	v_mfma_f32_16x16x16_f16 a[24:27], v[58:59], v[88:89], a[20:23]
	v_accvgpr_write_b32 a0, v54
	v_accvgpr_read_b32 v46, a12
	v_perm_b32 v85, v71, v69, s1
	v_perm_b32 v84, v67, v65, s1
	;; [unrolled: 1-line block ×10, first 2 shown]
	v_accvgpr_write_b32 a1, v55
	v_accvgpr_write_b32 a2, v56
	;; [unrolled: 1-line block ×3, first 2 shown]
	v_accvgpr_read_b32 v47, a13
	v_accvgpr_read_b32 v48, a14
	v_accvgpr_read_b32 v49, a15
	v_mfma_f32_16x16x16_f16 a[64:67], v[58:59], v[68:69], a[16:19]
	v_accvgpr_read_b32 v42, a8
	v_accvgpr_read_b32 v60, a4
	v_accvgpr_read_b32 v43, a9
	v_mfma_f32_16x16x16_f16 a[20:23], v[58:59], v[80:81], a[0:3]
	;; [unrolled: 4-line block ×3, first 2 shown]
	v_accvgpr_write_b32 a0, v46
	v_accvgpr_write_b32 a1, v47
	;; [unrolled: 1-line block ×4, first 2 shown]
	v_accvgpr_read_b32 v62, a6
	v_accvgpr_read_b32 v63, a7
	;; [unrolled: 1-line block ×4, first 2 shown]
	v_mfma_f32_16x16x16_f16 a[10:13], v[78:79], v[88:89], a[0:3]
	v_accvgpr_write_b32 a26, v60
	v_accvgpr_write_b32 a27, v61
	;; [unrolled: 1-line block ×8, first 2 shown]
	v_accvgpr_read_b32 v67, a17
	v_accvgpr_read_b32 v66, a16
	v_mfma_f32_16x16x16_f16 a[16:19], v[78:79], v[68:69], a[32:35]
	global_load_dwordx2 v[82:83], v[82:83], off
	s_nop 0
	global_load_dwordx2 v[24:25], v[24:25], off
	s_mov_b32 s0, s3
	v_accvgpr_read_b32 v75, a67
	v_mfma_f32_16x16x16_f16 a[6:9], v[78:79], v[80:81], a[0:3]
	v_accvgpr_read_b32 v74, a66
	v_accvgpr_read_b32 v71, a23
	v_accvgpr_read_b32 v70, a22
	v_mfma_f32_16x16x16_f16 a[0:3], v[78:79], v[86:87], a[36:39]
	v_accvgpr_read_b32 v65, a19
	v_accvgpr_read_b32 v64, a18
	;; [unrolled: 4-line block ×3, first 2 shown]
	v_accvgpr_read_b32 v56, a8
	v_mfma_f32_16x16x16_f16 a[34:37], v[84:85], v[88:89], a[52:55]
	global_load_dwordx2 v[88:89], v[26:27], off
	global_load_dwordx2 v[90:91], v[28:29], off
	s_nop 0
	global_load_dwordx2 v[26:27], v[30:31], off
	global_load_dwordx2 v[28:29], v[32:33], off
	s_nop 0
	global_load_dwordx2 v[32:33], v[34:35], off
	global_load_dwordx2 v[92:93], v[36:37], off
	v_accvgpr_read_b32 v38, a29
	v_accvgpr_read_b32 v42, a28
	v_accvgpr_write_b32 a28, v50
	v_accvgpr_write_b32 a29, v51
	;; [unrolled: 1-line block ×4, first 2 shown]
	s_waitcnt vmcnt(11)
	v_cvt_f32_f16_e32 v30, v20
	s_waitcnt vmcnt(9)
	v_cvt_f32_f16_e32 v31, v22
	v_mfma_f32_16x16x16_f16 a[28:31], v[76:77], v[80:81], a[28:31]
	v_accvgpr_read_b32 v49, a3
	v_accvgpr_read_b32 v48, a2
	;; [unrolled: 1-line block ×3, first 2 shown]
	v_mfma_f32_16x16x16_f16 a[2:5], v[76:77], v[68:69], a[40:43]
	v_accvgpr_read_b32 v62, a26
	v_pk_mul_f32 v[30:31], s[0:1], v[30:31] op_sel_hi:[0,1]
	v_pk_fma_f32 v[30:31], s[2:3], v[74:75], v[30:31] op_sel_hi:[0,1,1]
	v_mfma_f32_16x16x16_f16 a[42:45], v[76:77], v[86:87], a[44:47]
	v_accvgpr_read_b32 v76, a28
	v_accvgpr_read_b32 v40, a31
	v_accvgpr_read_b32 v50, a30
	v_mfma_f32_16x16x16_f16 a[38:41], v[84:85], v[68:69], a[48:51]
	v_accvgpr_read_b32 v68, a29
	v_cvt_pk_f16_f32 v74, v30, v31
	v_cvt_f32_f16_sdwa v30, v14 dst_sel:DWORD dst_unused:UNUSED_PAD src0_sel:WORD_1
	v_mfma_f32_16x16x16_f16 a[26:29], v[84:85], v[86:87], a[60:63]
	v_cvt_f32_f16_e32 v86, v14
	v_cvt_f32_f16_e32 v87, v18
	v_cvt_f32_f16_sdwa v31, v18 dst_sel:DWORD dst_unused:UNUSED_PAD src0_sel:WORD_1
	v_mfma_f32_16x16x16_f16 a[30:33], v[84:85], v[80:81], a[56:59]
	v_accvgpr_read_b32 v85, a65
	v_accvgpr_read_b32 v84, a64
	v_pk_mul_f32 v[34:35], s[0:1], v[86:87] op_sel_hi:[0,1]
	v_pk_fma_f32 v[34:35], s[2:3], v[84:85], v[34:35] op_sel_hi:[0,1,1]
	v_cvt_f32_f16_sdwa v36, v20 dst_sel:DWORD dst_unused:UNUSED_PAD src0_sel:WORD_1
	v_cvt_f32_f16_sdwa v37, v22 dst_sel:DWORD dst_unused:UNUSED_PAD src0_sel:WORD_1
	v_cvt_pk_f16_f32 v4, v34, v35
	v_accvgpr_read_b32 v35, a25
	v_accvgpr_read_b32 v34, a24
	v_pk_mul_f32 v[30:31], s[0:1], v[30:31] op_sel_hi:[0,1]
	v_pk_fma_f32 v[30:31], s[2:3], v[34:35], v[30:31] op_sel_hi:[0,1,1]
	v_cvt_pk_f16_f32 v75, v30, v31
	v_pk_mul_f32 v[30:31], s[0:1], v[36:37] op_sel_hi:[0,1]
	v_pk_fma_f32 v[30:31], s[2:3], v[72:73], v[30:31] op_sel_hi:[0,1,1]
	v_cvt_pk_f16_f32 v72, v30, v31
	v_cvt_f32_f16_e32 v30, v15
	v_cvt_f32_f16_e32 v31, v19
	;; [unrolled: 1-line block ×4, first 2 shown]
	v_accvgpr_read_b32 v35, a21
	v_accvgpr_read_b32 v34, a20
	v_pk_mul_f32 v[30:31], s[0:1], v[30:31] op_sel_hi:[0,1]
	v_pk_fma_f32 v[30:31], s[2:3], v[34:35], v[30:31] op_sel_hi:[0,1,1]
	v_pk_mul_f32 v[34:35], s[0:1], v[36:37] op_sel_hi:[0,1]
	v_pk_fma_f32 v[34:35], s[2:3], v[70:71], v[34:35] op_sel_hi:[0,1,1]
	v_cvt_pk_f16_f32 v70, v30, v31
	v_cvt_f32_f16_sdwa v30, v15 dst_sel:DWORD dst_unused:UNUSED_PAD src0_sel:WORD_1
	v_cvt_f32_f16_sdwa v31, v19 dst_sel:DWORD dst_unused:UNUSED_PAD src0_sel:WORD_1
	v_cvt_pk_f16_f32 v71, v34, v35
	v_cvt_f32_f16_sdwa v34, v21 dst_sel:DWORD dst_unused:UNUSED_PAD src0_sel:WORD_1
	v_cvt_f32_f16_sdwa v35, v23 dst_sel:DWORD dst_unused:UNUSED_PAD src0_sel:WORD_1
	v_accvgpr_read_b32 v37, a15
	v_accvgpr_read_b32 v36, a14
	v_pk_mul_f32 v[30:31], s[0:1], v[30:31] op_sel_hi:[0,1]
	v_pk_fma_f32 v[30:31], s[2:3], v[36:37], v[30:31] op_sel_hi:[0,1,1]
	v_cvt_pk_f16_f32 v73, v30, v31
	v_pk_mul_f32 v[30:31], s[0:1], v[34:35] op_sel_hi:[0,1]
	v_pk_fma_f32 v[30:31], s[2:3], v[66:67], v[30:31] op_sel_hi:[0,1,1]
	v_cvt_pk_f16_f32 v66, v30, v31
	v_cvt_f32_f16_e32 v30, v8
	v_cvt_f32_f16_e32 v31, v10
	;; [unrolled: 1-line block ×3, first 2 shown]
	s_waitcnt vmcnt(8)
	v_cvt_f32_f16_e32 v37, v16
	v_accvgpr_read_b32 v35, a17
	v_accvgpr_read_b32 v34, a16
	v_pk_mul_f32 v[30:31], s[0:1], v[30:31] op_sel_hi:[0,1]
	v_pk_fma_f32 v[30:31], s[2:3], v[34:35], v[30:31] op_sel_hi:[0,1,1]
	v_cvt_pk_f16_f32 v67, v30, v31
	v_pk_mul_f32 v[30:31], s[0:1], v[36:37] op_sel_hi:[0,1]
	v_pk_fma_f32 v[30:31], s[2:3], v[64:65], v[30:31] op_sel_hi:[0,1,1]
	v_cvt_pk_f16_f32 v64, v30, v31
	v_cvt_f32_f16_sdwa v30, v8 dst_sel:DWORD dst_unused:UNUSED_PAD src0_sel:WORD_1
	v_cvt_f32_f16_sdwa v31, v10 dst_sel:DWORD dst_unused:UNUSED_PAD src0_sel:WORD_1
	;; [unrolled: 1-line block ×4, first 2 shown]
	v_accvgpr_read_b32 v35, a11
	v_accvgpr_read_b32 v34, a10
	v_pk_mul_f32 v[30:31], s[0:1], v[30:31] op_sel_hi:[0,1]
	v_pk_fma_f32 v[30:31], s[2:3], v[34:35], v[30:31] op_sel_hi:[0,1,1]
	v_cvt_pk_f16_f32 v65, v30, v31
	v_pk_mul_f32 v[30:31], s[0:1], v[36:37] op_sel_hi:[0,1]
	v_pk_fma_f32 v[30:31], s[2:3], v[58:59], v[30:31] op_sel_hi:[0,1,1]
	v_cvt_pk_f16_f32 v58, v30, v31
	v_cvt_f32_f16_e32 v30, v9
	v_cvt_f32_f16_e32 v31, v11
	;; [unrolled: 1-line block ×4, first 2 shown]
	v_accvgpr_read_b32 v35, a7
	v_accvgpr_read_b32 v34, a6
	v_pk_mul_f32 v[30:31], s[0:1], v[30:31] op_sel_hi:[0,1]
	v_pk_fma_f32 v[30:31], s[2:3], v[34:35], v[30:31] op_sel_hi:[0,1,1]
	v_pk_mul_f32 v[34:35], s[0:1], v[36:37] op_sel_hi:[0,1]
	v_pk_fma_f32 v[34:35], s[2:3], v[56:57], v[34:35] op_sel_hi:[0,1,1]
	v_cvt_pk_f16_f32 v57, v34, v35
	v_cvt_f32_f16_sdwa v34, v13 dst_sel:DWORD dst_unused:UNUSED_PAD src0_sel:WORD_1
	v_cvt_f32_f16_sdwa v35, v17 dst_sel:DWORD dst_unused:UNUSED_PAD src0_sel:WORD_1
	v_cvt_pk_f16_f32 v56, v30, v31
	v_cvt_f32_f16_sdwa v30, v9 dst_sel:DWORD dst_unused:UNUSED_PAD src0_sel:WORD_1
	v_cvt_f32_f16_sdwa v31, v11 dst_sel:DWORD dst_unused:UNUSED_PAD src0_sel:WORD_1
	v_pk_mul_f32 v[34:35], s[0:1], v[34:35] op_sel_hi:[0,1]
	v_accvgpr_read_b32 v37, a1
	v_pk_fma_f32 v[34:35], s[2:3], v[48:49], v[34:35] op_sel_hi:[0,1,1]
	s_waitcnt vmcnt(7)
	v_cvt_f32_f16_e32 v48, v82
	s_waitcnt vmcnt(5)
	v_cvt_f32_f16_e32 v49, v88
	v_accvgpr_read_b32 v36, a0
	v_pk_mul_f32 v[30:31], s[0:1], v[30:31] op_sel_hi:[0,1]
	s_waitcnt vmcnt(1)
	v_cvt_f32_f16_e32 v45, v32
	v_pk_fma_f32 v[30:31], s[2:3], v[36:37], v[30:31] op_sel_hi:[0,1,1]
	v_cvt_f32_f16_e32 v47, v26
	v_cvt_f32_f16_sdwa v63, v82 dst_sel:DWORD dst_unused:UNUSED_PAD src0_sel:WORD_1
	v_cvt_f32_f16_sdwa v43, v26 dst_sel:DWORD dst_unused:UNUSED_PAD src0_sel:WORD_1
	v_cvt_pk_f16_f32 v59, v30, v31
	v_accvgpr_read_b32 v31, a3
	v_cvt_f32_f16_e32 v69, v89
	v_accvgpr_read_b32 v44, a5
	v_cvt_pk_f16_f32 v84, v34, v35
	v_accvgpr_read_b32 v30, a2
	v_pk_mul_f32 v[34:35], s[0:1], v[48:49] op_sel_hi:[0,1]
	v_cvt_f32_f16_e32 v51, v27
	v_accvgpr_read_b32 v46, a4
	v_pk_fma_f32 v[30:31], s[2:3], v[30:31], v[34:35] op_sel_hi:[0,1,1]
	v_pk_mul_f32 v[44:45], s[2:3], v[44:45]
	v_cvt_f32_f16_e32 v41, v33
	v_cvt_pk_f16_f32 v48, v30, v31
	v_pk_mul_f32 v[30:31], s[2:3], v[46:47]
	v_add_f32_e32 v47, v44, v45
	v_pk_mul_f32 v[44:45], s[2:3], v[62:63]
	v_pk_mul_f32 v[42:43], s[2:3], v[42:43]
	v_cvt_f32_f16_sdwa v81, v83 dst_sel:DWORD dst_unused:UNUSED_PAD src0_sel:WORD_1
	v_add_f32_e32 v9, v44, v45
	v_cvt_f32_f16_sdwa v39, v32 dst_sel:DWORD dst_unused:UNUSED_PAD src0_sel:WORD_1
	v_add_f32_e32 v49, v42, v43
	v_pk_mul_f32 v[42:43], s[2:3], v[68:69]
	v_cvt_f32_f16_sdwa v79, v89 dst_sel:DWORD dst_unused:UNUSED_PAD src0_sel:WORD_1
	v_cvt_f32_f16_sdwa v53, v88 dst_sel:DWORD dst_unused:UNUSED_PAD src0_sel:WORD_1
	v_cvt_f32_f16_e32 v77, v83
	v_add_f32_e32 v62, v42, v43
	v_pk_mul_f32 v[42:43], s[2:3], v[50:51]
	v_cvt_f16_f32_e32 v51, v9
	v_cvt_f32_f16_sdwa v61, v27 dst_sel:DWORD dst_unused:UNUSED_PAD src0_sel:WORD_1
	s_waitcnt vmcnt(0)
	v_cvt_f32_f16_sdwa v9, v92 dst_sel:DWORD dst_unused:UNUSED_PAD src0_sel:WORD_1
	v_accvgpr_read_b32 v80, a42
	v_pk_mul_f32 v[40:41], s[2:3], v[40:41]
	v_cvt_f32_f16_sdwa v55, v33 dst_sel:DWORD dst_unused:UNUSED_PAD src0_sel:WORD_1
	v_cvt_f32_f16_e32 v21, v90
	v_cvt_f32_f16_e32 v27, v25
	v_accvgpr_read_b32 v78, a43
	v_add_f32_e32 v46, v30, v31
	v_add_f32_e32 v68, v40, v41
	v_pk_mul_f32 v[40:41], s[2:3], v[80:81]
	v_cvt_f32_f16_e32 v31, v91
	v_accvgpr_read_b32 v60, a44
	v_accvgpr_read_b32 v8, a37
	v_pk_mul_f32 v[38:39], s[2:3], v[38:39]
	v_add_f32_e32 v69, v40, v41
	v_pk_mul_f32 v[40:41], s[2:3], v[78:79]
	v_cvt_f32_f16_sdwa v13, v90 dst_sel:DWORD dst_unused:UNUSED_PAD src0_sel:WORD_1
	v_cvt_f32_f16_e32 v35, v29
	v_accvgpr_read_b32 v54, a45
	v_accvgpr_read_b32 v20, a39
	;; [unrolled: 1-line block ×3, first 2 shown]
	v_pk_mul_f32 v[44:45], s[2:3], v[52:53]
	v_add_f32_e32 v52, v38, v39
	v_pk_mul_f32 v[38:39], s[2:3], v[76:77]
	v_add_f32_e32 v76, v40, v41
	v_pk_mul_f32 v[40:41], s[2:3], v[60:61]
	v_pk_mul_f32 v[8:9], s[2:3], v[8:9]
	v_cvt_f32_f16_e32 v37, v93
	v_accvgpr_read_b32 v30, a31
	v_add_f32_e32 v11, v44, v45
	v_add_f32_e32 v60, v40, v41
	v_cvt_f32_f16_e32 v23, v24
	v_pk_mul_f32 v[40:41], s[2:3], v[54:55]
	v_pk_mul_f32 v[20:21], s[2:3], v[20:21]
	v_add_f32_e32 v54, v8, v9
	v_pk_mul_f32 v[8:9], s[2:3], v[26:27]
	v_cvt_f32_f16_sdwa v45, v25 dst_sel:DWORD dst_unused:UNUSED_PAD src0_sel:WORD_1
	v_accvgpr_read_b32 v12, a35
	v_accvgpr_read_b32 v34, a32
	v_add_f32_e32 v50, v42, v43
	v_add_f32_e32 v40, v40, v41
	;; [unrolled: 1-line block ×3, first 2 shown]
	v_cvt_f32_f16_e32 v15, v92
	v_add_f32_e32 v21, v8, v9
	v_pk_mul_f32 v[8:9], s[2:3], v[30:31]
	v_cvt_f32_f16_sdwa v43, v91 dst_sel:DWORD dst_unused:UNUSED_PAD src0_sel:WORD_1
	v_accvgpr_read_b32 v36, a33
	v_add_f32_e32 v53, v38, v39
	v_cvt_f32_f16_sdwa v17, v24 dst_sel:DWORD dst_unused:UNUSED_PAD src0_sel:WORD_1
	v_pk_mul_f32 v[12:13], s[2:3], v[12:13]
	v_add_f32_e32 v30, v8, v9
	v_pk_mul_f32 v[8:9], s[2:3], v[34:35]
	v_cvt_f32_f16_sdwa v39, v29 dst_sel:DWORD dst_unused:UNUSED_PAD src0_sel:WORD_1
	v_accvgpr_read_b32 v22, a38
	v_accvgpr_read_b32 v44, a26
	v_cvt_f16_f32_e32 v63, v11
	v_cvt_f32_f16_e32 v19, v28
	v_cvt_f32_f16_sdwa v11, v28 dst_sel:DWORD dst_unused:UNUSED_PAD src0_sel:WORD_1
	v_add_f32_e32 v28, v12, v13
	v_add_f32_e32 v13, v8, v9
	v_pk_mul_f32 v[8:9], s[2:3], v[36:37]
	v_cvt_f32_f16_sdwa v33, v93 dst_sel:DWORD dst_unused:UNUSED_PAD src0_sel:WORD_1
	v_accvgpr_read_b32 v14, a41
	v_accvgpr_read_b32 v42, a27
	v_pk_mul_f32 v[22:23], s[2:3], v[22:23]
	v_add_f32_e32 v25, v8, v9
	v_pk_mul_f32 v[8:9], s[2:3], v[44:45]
	v_accvgpr_read_b32 v16, a34
	v_accvgpr_read_b32 v38, a28
	v_add_f32_e32 v22, v22, v23
	v_pk_mul_f32 v[14:15], s[2:3], v[14:15]
	v_add_f32_e32 v23, v8, v9
	v_pk_mul_f32 v[8:9], s[2:3], v[42:43]
	v_accvgpr_read_b32 v32, a29
	v_add_f32_e32 v24, v14, v15
	v_pk_mul_f32 v[14:15], s[2:3], v[16:17]
	v_add_f32_e32 v29, v8, v9
	v_pk_mul_f32 v[8:9], s[2:3], v[38:39]
	v_accvgpr_read_b32 v18, a40
	v_accvgpr_read_b32 v10, a36
	v_add_f32_e32 v20, v14, v15
	v_add_f32_e32 v14, v8, v9
	v_pk_mul_f32 v[8:9], s[2:3], v[32:33]
	v_pk_mul_f32 v[18:19], s[2:3], v[18:19]
	;; [unrolled: 1-line block ×3, first 2 shown]
	v_add_f32_e32 v26, v8, v9
	v_mad_u64_u32 v[8:9], s[2:3], s15, v1, v[2:3]
	v_mov_b32_e32 v6, s10
	v_mov_b32_e32 v7, s11
	v_mov_b32_e32 v9, v5
	v_add_f32_e32 v12, v10, v11
	v_lshl_add_u64 v[6:7], v[8:9], 1, v[6:7]
	v_perm_b32 v9, v84, v57, s1
	v_perm_b32 v8, v58, v64, s1
	;; [unrolled: 1-line block ×8, first 2 shown]
	v_mad_u64_u32 v[0:1], s[0:1], s15, v3, v[0:1]
	v_pack_b32_f16 v38, v4, v75
	v_mov_b32_e32 v1, v5
	v_add_u32_e32 v4, s15, v0
	v_pack_b32_f16 v37, v56, v59
	v_pack_b32_f16 v36, v67, v65
	;; [unrolled: 1-line block ×3, first 2 shown]
	v_lshl_add_u64 v[2:3], v[0:1], 1, v[6:7]
	v_lshl_add_u64 v[0:1], v[4:5], 1, v[6:7]
	v_add_u32_e32 v4, s15, v4
	v_cvt_pk_f16_f32 v21, v21, v23
	v_cvt_pk_f16_f32 v20, v22, v20
	;; [unrolled: 1-line block ×3, first 2 shown]
	v_pack_b32_f16 v22, v48, v51
	global_store_dwordx2 v[2:3], v[38:39], off
	global_store_dwordx2 v[0:1], v[36:37], off
	v_lshl_add_u64 v[0:1], v[4:5], 1, v[6:7]
	v_add_u32_e32 v4, s15, v4
	global_store_dwordx2 v[0:1], v[22:23], off
	v_lshl_add_u64 v[0:1], v[4:5], 1, v[6:7]
	v_add_u32_e32 v4, s15, v4
	;; [unrolled: 3-line block ×4, first 2 shown]
	v_cvt_pk_f16_f32 v29, v30, v29
	v_cvt_pk_f16_f32 v31, v62, v76
	v_alignbit_b32 v30, v63, v48, 16
	global_store_dwordx2 v[0:1], v[32:33], off
	v_lshl_add_u64 v[0:1], v[4:5], 1, v[6:7]
	v_add_u32_e32 v4, s15, v4
	v_add_f32_e32 v18, v18, v19
	v_cvt_pk_f16_f32 v28, v41, v28
	global_store_dwordx2 v[0:1], v[30:31], off
	v_lshl_add_u64 v[0:1], v[4:5], 1, v[6:7]
	v_add_u32_e32 v4, s15, v4
	v_cvt_pk_f16_f32 v12, v18, v12
	v_pack_b32_f16 v19, v71, v66
	v_pack_b32_f16 v18, v74, v72
	global_store_dwordx2 v[0:1], v[28:29], off
	v_lshl_add_u64 v[0:1], v[4:5], 1, v[6:7]
	v_add_u32_e32 v4, s15, v4
	v_pack_b32_f16 v17, v57, v84
	v_pack_b32_f16 v16, v64, v58
	global_store_dwordx2 v[0:1], v[18:19], off
	v_lshl_add_u64 v[0:1], v[4:5], 1, v[6:7]
	v_add_u32_e32 v4, s15, v4
	v_cvt_pk_f16_f32 v13, v13, v14
	v_cvt_pk_f16_f32 v15, v50, v60
	;; [unrolled: 1-line block ×3, first 2 shown]
	global_store_dwordx2 v[0:1], v[16:17], off
	v_lshl_add_u64 v[0:1], v[4:5], 1, v[6:7]
	v_add_u32_e32 v4, s15, v4
	global_store_dwordx2 v[0:1], v[14:15], off
	v_lshl_add_u64 v[0:1], v[4:5], 1, v[6:7]
	v_add_u32_e32 v4, s15, v4
	;; [unrolled: 3-line block ×4, first 2 shown]
	v_cvt_pk_f16_f32 v25, v25, v26
	v_cvt_pk_f16_f32 v27, v68, v40
	;; [unrolled: 1-line block ×3, first 2 shown]
	global_store_dwordx2 v[0:1], v[8:9], off
	v_lshl_add_u64 v[0:1], v[4:5], 1, v[6:7]
	v_add_u32_e32 v4, s15, v4
	v_cvt_pk_f16_f32 v24, v24, v54
	global_store_dwordx2 v[0:1], v[26:27], off
	v_lshl_add_u64 v[0:1], v[4:5], 1, v[6:7]
	global_store_dwordx2 v[0:1], v[24:25], off
.LBB0_5:
	s_endpgm
	.section	.rodata,"a",@progbits
	.p2align	6, 0x0
	.amdhsa_kernel _Z14gemm_rocwmma_djjjPKDF16_S0_S0_PDF16_jjjjff
		.amdhsa_group_segment_fixed_size 0
		.amdhsa_private_segment_fixed_size 0
		.amdhsa_kernarg_size 72
		.amdhsa_user_sgpr_count 2
		.amdhsa_user_sgpr_dispatch_ptr 0
		.amdhsa_user_sgpr_queue_ptr 0
		.amdhsa_user_sgpr_kernarg_segment_ptr 1
		.amdhsa_user_sgpr_dispatch_id 0
		.amdhsa_user_sgpr_kernarg_preload_length 0
		.amdhsa_user_sgpr_kernarg_preload_offset 0
		.amdhsa_user_sgpr_private_segment_size 0
		.amdhsa_uses_dynamic_stack 0
		.amdhsa_enable_private_segment 0
		.amdhsa_system_sgpr_workgroup_id_x 1
		.amdhsa_system_sgpr_workgroup_id_y 1
		.amdhsa_system_sgpr_workgroup_id_z 0
		.amdhsa_system_sgpr_workgroup_info 0
		.amdhsa_system_vgpr_workitem_id 1
		.amdhsa_next_free_vgpr 164
		.amdhsa_next_free_sgpr 24
		.amdhsa_accum_offset 96
		.amdhsa_reserve_vcc 1
		.amdhsa_float_round_mode_32 0
		.amdhsa_float_round_mode_16_64 0
		.amdhsa_float_denorm_mode_32 3
		.amdhsa_float_denorm_mode_16_64 3
		.amdhsa_dx10_clamp 1
		.amdhsa_ieee_mode 1
		.amdhsa_fp16_overflow 0
		.amdhsa_tg_split 0
		.amdhsa_exception_fp_ieee_invalid_op 0
		.amdhsa_exception_fp_denorm_src 0
		.amdhsa_exception_fp_ieee_div_zero 0
		.amdhsa_exception_fp_ieee_overflow 0
		.amdhsa_exception_fp_ieee_underflow 0
		.amdhsa_exception_fp_ieee_inexact 0
		.amdhsa_exception_int_div_zero 0
	.end_amdhsa_kernel
	.text
.Lfunc_end0:
	.size	_Z14gemm_rocwmma_djjjPKDF16_S0_S0_PDF16_jjjjff, .Lfunc_end0-_Z14gemm_rocwmma_djjjPKDF16_S0_S0_PDF16_jjjjff
                                        ; -- End function
	.set _Z14gemm_rocwmma_djjjPKDF16_S0_S0_PDF16_jjjjff.num_vgpr, 94
	.set _Z14gemm_rocwmma_djjjPKDF16_S0_S0_PDF16_jjjjff.num_agpr, 68
	.set _Z14gemm_rocwmma_djjjPKDF16_S0_S0_PDF16_jjjjff.numbered_sgpr, 24
	.set _Z14gemm_rocwmma_djjjPKDF16_S0_S0_PDF16_jjjjff.num_named_barrier, 0
	.set _Z14gemm_rocwmma_djjjPKDF16_S0_S0_PDF16_jjjjff.private_seg_size, 0
	.set _Z14gemm_rocwmma_djjjPKDF16_S0_S0_PDF16_jjjjff.uses_vcc, 1
	.set _Z14gemm_rocwmma_djjjPKDF16_S0_S0_PDF16_jjjjff.uses_flat_scratch, 0
	.set _Z14gemm_rocwmma_djjjPKDF16_S0_S0_PDF16_jjjjff.has_dyn_sized_stack, 0
	.set _Z14gemm_rocwmma_djjjPKDF16_S0_S0_PDF16_jjjjff.has_recursion, 0
	.set _Z14gemm_rocwmma_djjjPKDF16_S0_S0_PDF16_jjjjff.has_indirect_call, 0
	.section	.AMDGPU.csdata,"",@progbits
; Kernel info:
; codeLenInByte = 5484
; TotalNumSgprs: 30
; NumVgprs: 94
; NumAgprs: 68
; TotalNumVgprs: 164
; ScratchSize: 0
; MemoryBound: 0
; FloatMode: 240
; IeeeMode: 1
; LDSByteSize: 0 bytes/workgroup (compile time only)
; SGPRBlocks: 3
; VGPRBlocks: 20
; NumSGPRsForWavesPerEU: 30
; NumVGPRsForWavesPerEU: 164
; AccumOffset: 96
; Occupancy: 3
; WaveLimiterHint : 0
; COMPUTE_PGM_RSRC2:SCRATCH_EN: 0
; COMPUTE_PGM_RSRC2:USER_SGPR: 2
; COMPUTE_PGM_RSRC2:TRAP_HANDLER: 0
; COMPUTE_PGM_RSRC2:TGID_X_EN: 1
; COMPUTE_PGM_RSRC2:TGID_Y_EN: 1
; COMPUTE_PGM_RSRC2:TGID_Z_EN: 0
; COMPUTE_PGM_RSRC2:TIDIG_COMP_CNT: 1
; COMPUTE_PGM_RSRC3_GFX90A:ACCUM_OFFSET: 23
; COMPUTE_PGM_RSRC3_GFX90A:TG_SPLIT: 0
	.text
	.p2alignl 6, 3212836864
	.fill 256, 4, 3212836864
	.section	.AMDGPU.gpr_maximums,"",@progbits
	.set amdgpu.max_num_vgpr, 0
	.set amdgpu.max_num_agpr, 0
	.set amdgpu.max_num_sgpr, 0
	.text
	.type	__hip_cuid_30cbfe8275d16f9c,@object ; @__hip_cuid_30cbfe8275d16f9c
	.section	.bss,"aw",@nobits
	.globl	__hip_cuid_30cbfe8275d16f9c
__hip_cuid_30cbfe8275d16f9c:
	.byte	0                               ; 0x0
	.size	__hip_cuid_30cbfe8275d16f9c, 1

	.ident	"AMD clang version 22.0.0git (https://github.com/RadeonOpenCompute/llvm-project roc-7.2.4 26084 f58b06dce1f9c15707c5f808fd002e18c2accf7e)"
	.section	".note.GNU-stack","",@progbits
	.addrsig
	.addrsig_sym __hip_cuid_30cbfe8275d16f9c
	.amdgpu_metadata
---
amdhsa.kernels:
  - .agpr_count:     68
    .args:
      - .offset:         0
        .size:           4
        .value_kind:     by_value
      - .offset:         4
        .size:           4
        .value_kind:     by_value
      - .offset:         8
        .size:           4
        .value_kind:     by_value
      - .address_space:  global
        .offset:         16
        .size:           8
        .value_kind:     global_buffer
      - .address_space:  global
        .offset:         24
        .size:           8
        .value_kind:     global_buffer
      - .address_space:  global
        .offset:         32
        .size:           8
        .value_kind:     global_buffer
      - .address_space:  global
        .offset:         40
        .size:           8
        .value_kind:     global_buffer
      - .offset:         48
        .size:           4
        .value_kind:     by_value
      - .offset:         52
        .size:           4
        .value_kind:     by_value
      - .offset:         56
        .size:           4
        .value_kind:     by_value
      - .offset:         60
        .size:           4
        .value_kind:     by_value
      - .offset:         64
        .size:           4
        .value_kind:     by_value
      - .offset:         68
        .size:           4
        .value_kind:     by_value
    .group_segment_fixed_size: 0
    .kernarg_segment_align: 8
    .kernarg_segment_size: 72
    .language:       OpenCL C
    .language_version:
      - 2
      - 0
    .max_flat_workgroup_size: 256
    .name:           _Z14gemm_rocwmma_djjjPKDF16_S0_S0_PDF16_jjjjff
    .private_segment_fixed_size: 0
    .sgpr_count:     30
    .sgpr_spill_count: 0
    .symbol:         _Z14gemm_rocwmma_djjjPKDF16_S0_S0_PDF16_jjjjff.kd
    .uniform_work_group_size: 1
    .uses_dynamic_stack: false
    .vgpr_count:     164
    .vgpr_spill_count: 0
    .wavefront_size: 64
amdhsa.target:   amdgcn-amd-amdhsa--gfx950
amdhsa.version:
  - 1
  - 2
...

	.end_amdgpu_metadata
